;; amdgpu-corpus repo=ROCm/rocFFT kind=compiled arch=gfx1030 opt=O3
	.text
	.amdgcn_target "amdgcn-amd-amdhsa--gfx1030"
	.amdhsa_code_object_version 6
	.protected	fft_rtc_fwd_len1920_factors_10_6_16_2_wgs_240_tpt_120_halfLds_half_op_CI_CI_unitstride_sbrr_dirReg ; -- Begin function fft_rtc_fwd_len1920_factors_10_6_16_2_wgs_240_tpt_120_halfLds_half_op_CI_CI_unitstride_sbrr_dirReg
	.globl	fft_rtc_fwd_len1920_factors_10_6_16_2_wgs_240_tpt_120_halfLds_half_op_CI_CI_unitstride_sbrr_dirReg
	.p2align	8
	.type	fft_rtc_fwd_len1920_factors_10_6_16_2_wgs_240_tpt_120_halfLds_half_op_CI_CI_unitstride_sbrr_dirReg,@function
fft_rtc_fwd_len1920_factors_10_6_16_2_wgs_240_tpt_120_halfLds_half_op_CI_CI_unitstride_sbrr_dirReg: ; @fft_rtc_fwd_len1920_factors_10_6_16_2_wgs_240_tpt_120_halfLds_half_op_CI_CI_unitstride_sbrr_dirReg
; %bb.0:
	s_clause 0x2
	s_load_dwordx4 s[12:15], s[4:5], 0x0
	s_load_dwordx4 s[8:11], s[4:5], 0x58
	;; [unrolled: 1-line block ×3, first 2 shown]
	v_mul_u32_u24_e32 v1, 0x223, v0
	v_mov_b32_e32 v3, 0
	v_mov_b32_e32 v7, 0
	;; [unrolled: 1-line block ×3, first 2 shown]
	v_lshrrev_b32_e32 v15, 16, v1
	v_mov_b32_e32 v10, v3
	v_lshl_add_u32 v9, s6, 1, v15
	s_waitcnt lgkmcnt(0)
	v_cmp_lt_u64_e64 s0, s[14:15], 2
	s_and_b32 vcc_lo, exec_lo, s0
	s_cbranch_vccnz .LBB0_8
; %bb.1:
	s_load_dwordx2 s[0:1], s[4:5], 0x10
	v_mov_b32_e32 v7, 0
	v_mov_b32_e32 v8, 0
	s_add_u32 s2, s18, 8
	s_addc_u32 s3, s19, 0
	v_mov_b32_e32 v1, v7
	s_add_u32 s6, s16, 8
	v_mov_b32_e32 v2, v8
	s_addc_u32 s7, s17, 0
	s_mov_b64 s[22:23], 1
	s_waitcnt lgkmcnt(0)
	s_add_u32 s20, s0, 8
	s_addc_u32 s21, s1, 0
.LBB0_2:                                ; =>This Inner Loop Header: Depth=1
	s_load_dwordx2 s[24:25], s[20:21], 0x0
                                        ; implicit-def: $vgpr5_vgpr6
	s_mov_b32 s0, exec_lo
	s_waitcnt lgkmcnt(0)
	v_or_b32_e32 v4, s25, v10
	v_cmpx_ne_u64_e32 0, v[3:4]
	s_xor_b32 s1, exec_lo, s0
	s_cbranch_execz .LBB0_4
; %bb.3:                                ;   in Loop: Header=BB0_2 Depth=1
	v_cvt_f32_u32_e32 v4, s24
	v_cvt_f32_u32_e32 v5, s25
	s_sub_u32 s0, 0, s24
	s_subb_u32 s26, 0, s25
	v_fmac_f32_e32 v4, 0x4f800000, v5
	v_rcp_f32_e32 v4, v4
	v_mul_f32_e32 v4, 0x5f7ffffc, v4
	v_mul_f32_e32 v5, 0x2f800000, v4
	v_trunc_f32_e32 v5, v5
	v_fmac_f32_e32 v4, 0xcf800000, v5
	v_cvt_u32_f32_e32 v5, v5
	v_cvt_u32_f32_e32 v4, v4
	v_mul_lo_u32 v6, s0, v5
	v_mul_hi_u32 v11, s0, v4
	v_mul_lo_u32 v12, s26, v4
	v_add_nc_u32_e32 v6, v11, v6
	v_mul_lo_u32 v11, s0, v4
	v_add_nc_u32_e32 v6, v6, v12
	v_mul_hi_u32 v12, v4, v11
	v_mul_lo_u32 v13, v4, v6
	v_mul_hi_u32 v14, v4, v6
	v_mul_hi_u32 v16, v5, v11
	v_mul_lo_u32 v11, v5, v11
	v_mul_hi_u32 v17, v5, v6
	v_mul_lo_u32 v6, v5, v6
	v_add_co_u32 v12, vcc_lo, v12, v13
	v_add_co_ci_u32_e32 v13, vcc_lo, 0, v14, vcc_lo
	v_add_co_u32 v11, vcc_lo, v12, v11
	v_add_co_ci_u32_e32 v11, vcc_lo, v13, v16, vcc_lo
	v_add_co_ci_u32_e32 v12, vcc_lo, 0, v17, vcc_lo
	v_add_co_u32 v6, vcc_lo, v11, v6
	v_add_co_ci_u32_e32 v11, vcc_lo, 0, v12, vcc_lo
	v_add_co_u32 v4, vcc_lo, v4, v6
	v_add_co_ci_u32_e32 v5, vcc_lo, v5, v11, vcc_lo
	v_mul_hi_u32 v6, s0, v4
	v_mul_lo_u32 v12, s26, v4
	v_mul_lo_u32 v11, s0, v5
	v_add_nc_u32_e32 v6, v6, v11
	v_mul_lo_u32 v11, s0, v4
	v_add_nc_u32_e32 v6, v6, v12
	v_mul_hi_u32 v12, v4, v11
	v_mul_lo_u32 v13, v4, v6
	v_mul_hi_u32 v14, v4, v6
	v_mul_hi_u32 v16, v5, v11
	v_mul_lo_u32 v11, v5, v11
	v_mul_hi_u32 v17, v5, v6
	v_mul_lo_u32 v6, v5, v6
	v_add_co_u32 v12, vcc_lo, v12, v13
	v_add_co_ci_u32_e32 v13, vcc_lo, 0, v14, vcc_lo
	v_add_co_u32 v11, vcc_lo, v12, v11
	v_add_co_ci_u32_e32 v11, vcc_lo, v13, v16, vcc_lo
	v_add_co_ci_u32_e32 v12, vcc_lo, 0, v17, vcc_lo
	v_add_co_u32 v6, vcc_lo, v11, v6
	v_add_co_ci_u32_e32 v11, vcc_lo, 0, v12, vcc_lo
	v_add_co_u32 v6, vcc_lo, v4, v6
	v_add_co_ci_u32_e32 v13, vcc_lo, v5, v11, vcc_lo
	v_mul_hi_u32 v16, v9, v6
	v_mad_u64_u32 v[11:12], null, v10, v6, 0
	v_mad_u64_u32 v[4:5], null, v9, v13, 0
	v_mad_u64_u32 v[13:14], null, v10, v13, 0
	v_add_co_u32 v4, vcc_lo, v16, v4
	v_add_co_ci_u32_e32 v5, vcc_lo, 0, v5, vcc_lo
	v_add_co_u32 v4, vcc_lo, v4, v11
	v_add_co_ci_u32_e32 v4, vcc_lo, v5, v12, vcc_lo
	v_add_co_ci_u32_e32 v5, vcc_lo, 0, v14, vcc_lo
	v_add_co_u32 v11, vcc_lo, v4, v13
	v_add_co_ci_u32_e32 v6, vcc_lo, 0, v5, vcc_lo
	v_mul_lo_u32 v12, s25, v11
	v_mad_u64_u32 v[4:5], null, s24, v11, 0
	v_mul_lo_u32 v13, s24, v6
	v_sub_co_u32 v4, vcc_lo, v9, v4
	v_add3_u32 v5, v5, v13, v12
	v_sub_nc_u32_e32 v12, v10, v5
	v_subrev_co_ci_u32_e64 v12, s0, s25, v12, vcc_lo
	v_add_co_u32 v13, s0, v11, 2
	v_add_co_ci_u32_e64 v14, s0, 0, v6, s0
	v_sub_co_u32 v16, s0, v4, s24
	v_sub_co_ci_u32_e32 v5, vcc_lo, v10, v5, vcc_lo
	v_subrev_co_ci_u32_e64 v12, s0, 0, v12, s0
	v_cmp_le_u32_e32 vcc_lo, s24, v16
	v_cmp_eq_u32_e64 s0, s25, v5
	v_cndmask_b32_e64 v16, 0, -1, vcc_lo
	v_cmp_le_u32_e32 vcc_lo, s25, v12
	v_cndmask_b32_e64 v17, 0, -1, vcc_lo
	v_cmp_le_u32_e32 vcc_lo, s24, v4
	;; [unrolled: 2-line block ×3, first 2 shown]
	v_cndmask_b32_e64 v18, 0, -1, vcc_lo
	v_cmp_eq_u32_e32 vcc_lo, s25, v12
	v_cndmask_b32_e64 v4, v18, v4, s0
	v_cndmask_b32_e32 v12, v17, v16, vcc_lo
	v_add_co_u32 v16, vcc_lo, v11, 1
	v_add_co_ci_u32_e32 v17, vcc_lo, 0, v6, vcc_lo
	v_cmp_ne_u32_e32 vcc_lo, 0, v12
	v_cndmask_b32_e32 v5, v17, v14, vcc_lo
	v_cndmask_b32_e32 v12, v16, v13, vcc_lo
	v_cmp_ne_u32_e32 vcc_lo, 0, v4
	v_cndmask_b32_e32 v6, v6, v5, vcc_lo
	v_cndmask_b32_e32 v5, v11, v12, vcc_lo
.LBB0_4:                                ;   in Loop: Header=BB0_2 Depth=1
	s_andn2_saveexec_b32 s0, s1
	s_cbranch_execz .LBB0_6
; %bb.5:                                ;   in Loop: Header=BB0_2 Depth=1
	v_cvt_f32_u32_e32 v4, s24
	s_sub_i32 s1, 0, s24
	v_rcp_iflag_f32_e32 v4, v4
	v_mul_f32_e32 v4, 0x4f7ffffe, v4
	v_cvt_u32_f32_e32 v4, v4
	v_mul_lo_u32 v5, s1, v4
	v_mul_hi_u32 v5, v4, v5
	v_add_nc_u32_e32 v4, v4, v5
	v_mul_hi_u32 v4, v9, v4
	v_mul_lo_u32 v5, v4, s24
	v_add_nc_u32_e32 v6, 1, v4
	v_sub_nc_u32_e32 v5, v9, v5
	v_subrev_nc_u32_e32 v11, s24, v5
	v_cmp_le_u32_e32 vcc_lo, s24, v5
	v_cndmask_b32_e32 v5, v5, v11, vcc_lo
	v_cndmask_b32_e32 v4, v4, v6, vcc_lo
	v_cmp_le_u32_e32 vcc_lo, s24, v5
	v_add_nc_u32_e32 v6, 1, v4
	v_cndmask_b32_e32 v5, v4, v6, vcc_lo
	v_mov_b32_e32 v6, v3
.LBB0_6:                                ;   in Loop: Header=BB0_2 Depth=1
	s_or_b32 exec_lo, exec_lo, s0
	v_mul_lo_u32 v4, v6, s24
	v_mul_lo_u32 v13, v5, s25
	s_load_dwordx2 s[0:1], s[6:7], 0x0
	v_mad_u64_u32 v[11:12], null, v5, s24, 0
	s_load_dwordx2 s[24:25], s[2:3], 0x0
	s_add_u32 s22, s22, 1
	s_addc_u32 s23, s23, 0
	s_add_u32 s2, s2, 8
	s_addc_u32 s3, s3, 0
	s_add_u32 s6, s6, 8
	v_add3_u32 v4, v12, v13, v4
	v_sub_co_u32 v9, vcc_lo, v9, v11
	s_addc_u32 s7, s7, 0
	s_add_u32 s20, s20, 8
	v_sub_co_ci_u32_e32 v4, vcc_lo, v10, v4, vcc_lo
	s_addc_u32 s21, s21, 0
	s_waitcnt lgkmcnt(0)
	v_mul_lo_u32 v10, s0, v4
	v_mul_lo_u32 v11, s1, v9
	v_mad_u64_u32 v[7:8], null, s0, v9, v[7:8]
	v_mul_lo_u32 v4, s24, v4
	v_mul_lo_u32 v12, s25, v9
	v_mad_u64_u32 v[1:2], null, s24, v9, v[1:2]
	v_cmp_ge_u64_e64 s0, s[22:23], s[14:15]
	v_add3_u32 v8, v11, v8, v10
	v_add3_u32 v2, v12, v2, v4
	s_and_b32 vcc_lo, exec_lo, s0
	s_cbranch_vccnz .LBB0_9
; %bb.7:                                ;   in Loop: Header=BB0_2 Depth=1
	v_mov_b32_e32 v10, v6
	v_mov_b32_e32 v9, v5
	s_branch .LBB0_2
.LBB0_8:
	v_mov_b32_e32 v1, v7
	v_mov_b32_e32 v5, v9
	;; [unrolled: 1-line block ×4, first 2 shown]
.LBB0_9:
	s_load_dwordx2 s[0:1], s[4:5], 0x28
	v_mul_hi_u32 v11, 0x2222223, v0
	s_lshl_b64 s[4:5], s[14:15], 3
                                        ; implicit-def: $vgpr3
	s_add_u32 s2, s18, s4
	s_addc_u32 s3, s19, s5
	s_waitcnt lgkmcnt(0)
	v_cmp_gt_u64_e32 vcc_lo, s[0:1], v[5:6]
	v_cmp_le_u64_e64 s0, s[0:1], v[5:6]
	s_and_saveexec_b32 s1, s0
	s_xor_b32 s0, exec_lo, s1
; %bb.10:
	v_mul_u32_u24_e32 v3, 0x78, v11
                                        ; implicit-def: $vgpr11
                                        ; implicit-def: $vgpr7_vgpr8
	v_sub_nc_u32_e32 v3, v0, v3
                                        ; implicit-def: $vgpr0
; %bb.11:
	s_or_saveexec_b32 s1, s0
	s_load_dwordx2 s[2:3], s[2:3], 0x0
                                        ; implicit-def: $vgpr43
                                        ; implicit-def: $vgpr16
                                        ; implicit-def: $vgpr44
                                        ; implicit-def: $vgpr20
                                        ; implicit-def: $vgpr4
                                        ; implicit-def: $vgpr34
                                        ; implicit-def: $vgpr35
                                        ; implicit-def: $vgpr31
                                        ; implicit-def: $vgpr37
                                        ; implicit-def: $vgpr33
                                        ; implicit-def: $vgpr36
                                        ; implicit-def: $vgpr32
                                        ; implicit-def: $vgpr38
                                        ; implicit-def: $vgpr21
                                        ; implicit-def: $vgpr30
                                        ; implicit-def: $vgpr18
                                        ; implicit-def: $vgpr17
                                        ; implicit-def: $vgpr19
                                        ; implicit-def: $vgpr41
                                        ; implicit-def: $vgpr39
                                        ; implicit-def: $vgpr45
                                        ; implicit-def: $vgpr46
                                        ; implicit-def: $vgpr42
                                        ; implicit-def: $vgpr40
                                        ; implicit-def: $vgpr9
                                        ; implicit-def: $vgpr10
	s_xor_b32 exec_lo, exec_lo, s1
	s_cbranch_execz .LBB0_15
; %bb.12:
	s_add_u32 s4, s16, s4
	s_addc_u32 s5, s17, s5
	v_mul_u32_u24_e32 v3, 0x78, v11
	s_load_dwordx2 s[4:5], s[4:5], 0x0
	v_lshlrev_b64 v[7:8], 2, v[7:8]
                                        ; implicit-def: $vgpr19
                                        ; implicit-def: $vgpr30
                                        ; implicit-def: $vgpr38
                                        ; implicit-def: $vgpr32
                                        ; implicit-def: $vgpr36
                                        ; implicit-def: $vgpr33
                                        ; implicit-def: $vgpr37
                                        ; implicit-def: $vgpr31
                                        ; implicit-def: $vgpr35
                                        ; implicit-def: $vgpr34
	v_sub_nc_u32_e32 v3, v0, v3
	v_lshlrev_b32_e32 v0, 2, v3
	v_or_b32_e32 v11, 0x1200, v0
	s_waitcnt lgkmcnt(0)
	v_mul_lo_u32 v4, s5, v5
	v_mul_lo_u32 v12, s4, v6
	v_mad_u64_u32 v[9:10], null, s4, v5, 0
	s_mov_b32 s4, exec_lo
	v_add3_u32 v10, v10, v12, v4
	v_or_b32_e32 v4, 0xc00, v0
	v_or_b32_e32 v12, 0x1800, v0
	v_lshlrev_b64 v[9:10], 2, v[9:10]
	v_add_co_u32 v9, s0, s8, v9
	v_add_co_ci_u32_e64 v10, s0, s9, v10, s0
	v_add_co_u32 v9, s0, v9, v7
	v_add_co_ci_u32_e64 v10, s0, v10, v8, s0
	;; [unrolled: 2-line block ×9, first 2 shown]
	s_clause 0x9
	global_load_dword v16, v[7:8], off
	global_load_dword v20, v[7:8], off offset:768
	global_load_dword v23, v[7:8], off offset:1536
	;; [unrolled: 1-line block ×3, first 2 shown]
	global_load_dword v25, v[21:22], off
	global_load_dword v22, v[11:12], off offset:1280
	global_load_dword v26, v[17:18], off
	global_load_dword v24, v[9:10], off offset:1792
	;; [unrolled: 2-line block ×3, first 2 shown]
                                        ; implicit-def: $vgpr17
                                        ; implicit-def: $vgpr18
                                        ; implicit-def: $vgpr21
                                        ; implicit-def: $vgpr4
	v_cmpx_gt_u32_e32 0x48, v3
	s_cbranch_execz .LBB0_14
; %bb.13:
	s_clause 0x9
	global_load_dword v29, v[7:8], off offset:2016
	global_load_dword v31, v[9:10], off offset:1504
	;; [unrolled: 1-line block ×10, first 2 shown]
	s_waitcnt vmcnt(9)
	v_lshrrev_b32_e32 v34, 16, v29
	s_waitcnt vmcnt(8)
	v_lshrrev_b32_e32 v35, 16, v31
	;; [unrolled: 2-line block ×4, first 2 shown]
	s_waitcnt vmcnt(5)
	v_bfi_b32 v38, 0xffff, v29, v4
.LBB0_14:
	s_or_b32 exec_lo, exec_lo, s4
	s_waitcnt vmcnt(9)
	v_lshrrev_b32_e32 v43, 16, v16
	s_waitcnt vmcnt(8)
	v_lshrrev_b32_e32 v44, 16, v20
	s_waitcnt vmcnt(3)
	v_perm_b32 v41, v26, v23, 0x7060302
	s_waitcnt vmcnt(1)
	v_perm_b32 v39, v25, v28, 0x7060302
	v_perm_b32 v45, v26, v23, 0x5040100
	;; [unrolled: 1-line block ×4, first 2 shown]
	s_waitcnt vmcnt(0)
	v_perm_b32 v40, v22, v27, 0x7060302
	v_perm_b32 v9, v24, v0, 0x5040100
	;; [unrolled: 1-line block ×3, first 2 shown]
.LBB0_15:
	s_or_b32 exec_lo, exec_lo, s1
	v_add_f16_e32 v7, v9, v20
	v_add_f16_e32 v0, v45, v16
	v_pk_add_f16 v11, v9, v10
	v_pk_add_f16 v12, v42, v40 neg_lo:[0,1] neg_hi:[0,1]
	v_and_b32_e32 v8, 1, v15
	v_add_f16_sdwa v7, v7, v9 dst_sel:DWORD dst_unused:UNUSED_PAD src0_sel:DWORD src1_sel:WORD_1
	v_add_f16_sdwa v0, v0, v45 dst_sel:DWORD dst_unused:UNUSED_PAD src0_sel:DWORD src1_sel:WORD_1
	v_pk_fma_f16 v11, v11, 0.5, v20 op_sel_hi:[1,0,0] neg_lo:[1,0,0] neg_hi:[1,0,0]
	v_pk_mul_f16 v15, 0x3b9c, v12 op_sel_hi:[0,1]
	v_cmp_eq_u32_e64 s0, 1, v8
	v_add_f16_sdwa v7, v7, v10 dst_sel:DWORD dst_unused:UNUSED_PAD src0_sel:DWORD src1_sel:WORD_1
	v_add_f16_sdwa v14, v0, v46 dst_sel:DWORD dst_unused:UNUSED_PAD src0_sel:DWORD src1_sel:WORD_1
	v_pk_add_f16 v13, v9, v9 op_sel:[0,1] op_sel_hi:[1,0] neg_lo:[0,1] neg_hi:[0,1]
	v_pk_add_f16 v8, v11, v15 op_sel:[0,1] op_sel_hi:[1,0]
	v_pk_add_f16 v11, v11, v15 op_sel:[0,1] op_sel_hi:[1,0] neg_lo:[0,1] neg_hi:[0,1]
	v_add_f16_e32 v25, v7, v10
	v_pk_add_f16 v7, v42, v40
	v_add_f16_e32 v24, v14, v46
	v_pk_add_f16 v14, v10, v10 op_sel:[0,1] op_sel_hi:[1,0] neg_lo:[0,1] neg_hi:[0,1]
	v_pk_add_f16 v9, v9, v10 neg_lo:[0,1] neg_hi:[0,1]
	v_pk_mul_f16 v10, 0x38b4, v12 op_sel_hi:[0,1]
	v_pk_fma_f16 v7, v7, 0.5, v44 op_sel_hi:[1,0,0] neg_lo:[1,0,0] neg_hi:[1,0,0]
	v_alignbit_b32 v12, v11, v8, 16
	v_alignbit_b32 v8, v8, v11, 16
	v_pk_add_f16 v13, v13, v14
	v_pk_add_f16 v20, v40, v40 op_sel:[0,1] op_sel_hi:[1,0] neg_lo:[0,1] neg_hi:[0,1]
	v_pk_fma_f16 v14, 0x3b9c, v9, v7 op_sel:[0,0,1] op_sel_hi:[0,1,0] neg_lo:[0,1,0] neg_hi:[0,1,0]
	v_pk_fma_f16 v15, 0x3b9c, v9, v7 op_sel:[0,0,1] op_sel_hi:[0,1,0]
	v_pk_add_f16 v7, v10, v12 op_sel:[1,0] op_sel_hi:[0,1]
	v_pk_add_f16 v8, v8, v10 op_sel:[0,1] op_sel_hi:[1,0] neg_lo:[0,1] neg_hi:[0,1]
	v_add_f16_e32 v10, v4, v38
	v_pk_mul_f16 v12, 0x38b4, v9 op_sel_hi:[0,1]
	v_pk_add_f16 v9, v42, v42 op_sel:[0,1] op_sel_hi:[1,0] neg_lo:[0,1] neg_hi:[0,1]
	v_bfi_b32 v22, 0xffff, v14, v15
	v_pk_fma_f16 v47, 0x34f2, v13, v8 op_sel_hi:[0,1,1]
	v_bfi_b32 v8, 0xffff, v15, v14
	v_add_f16_e32 v10, v10, v31
	v_pk_fma_f16 v50, 0x34f2, v13, v7 op_sel_hi:[0,1,1]
	v_add_f16_e32 v7, v31, v32
	v_pk_add_f16 v11, v9, v20
	v_pk_add_f16 v9, v22, v12 op_sel:[0,1] op_sel_hi:[1,0] neg_lo:[0,1] neg_hi:[0,1]
	v_add_f16_e32 v13, v38, v33
	v_pk_add_f16 v8, v12, v8 op_sel:[1,0] op_sel_hi:[0,1]
	v_add_f16_e32 v10, v10, v32
	v_fma_f16 v7, -0.5, v7, v4
	v_sub_f16_e32 v20, v34, v37
	v_pk_fma_f16 v49, 0x34f2, v11, v9 op_sel_hi:[0,1,1]
	v_sub_f16_e32 v14, v35, v36
	v_sub_f16_e32 v15, v38, v31
	;; [unrolled: 1-line block ×3, first 2 shown]
	v_fmac_f16_e32 v4, -0.5, v13
	v_pk_fma_f16 v57, 0x34f2, v11, v8 op_sel_hi:[0,1,1]
	v_add_f16_e32 v11, v33, v10
	v_pk_add_f16 v10, v30, v21 neg_lo:[0,1] neg_hi:[0,1]
	v_pk_add_f16 v13, v17, v18 neg_lo:[0,1] neg_hi:[0,1]
	v_fmamk_f16 v9, v20, 0x3b9c, v7
	v_add_f16_e32 v12, v15, v22
	v_fmac_f16_e32 v7, 0xbb9c, v20
	v_fmamk_f16 v23, v14, 0xbb9c, v4
	v_sub_f16_e32 v8, v31, v38
	v_sub_f16_e32 v15, v32, v33
	v_add_f16_e32 v22, v21, v18
	v_pk_add_f16 v26, v30, v17 neg_lo:[0,1] neg_hi:[0,1]
	v_pk_add_f16 v27, v21, v18 neg_lo:[0,1] neg_hi:[0,1]
	v_pk_add_f16 v10, v10, v13
	v_fmac_f16_e32 v4, 0x3b9c, v14
	v_add_f16_e32 v13, v19, v30
	v_fmac_f16_e32 v9, 0x38b4, v14
	v_fmac_f16_e32 v7, 0xb8b4, v14
	;; [unrolled: 1-line block ×3, first 2 shown]
	v_fma_f16 v14, -0.5, v22, v19
	v_lshrrev_b32_e32 v22, 16, v26
	v_bfi_b32 v10, 0xffff, v10, v27
	v_add_f16_e32 v8, v8, v15
	v_fmac_f16_e32 v4, 0xb8b4, v20
	v_add_f16_e32 v13, v13, v21
	v_fmamk_f16 v15, v22, 0x3b9c, v14
	v_pk_mul_f16 v10, 0x38b434f2, v10
	v_fmac_f16_e32 v23, 0x34f2, v8
	v_fmac_f16_e32 v4, 0x34f2, v8
	v_add_f16_e32 v8, v13, v18
	v_fmac_f16_e32 v9, 0x34f2, v12
	v_fmac_f16_e32 v7, 0x34f2, v12
	v_add_f16_sdwa v12, v10, v15 dst_sel:DWORD dst_unused:UNUSED_PAD src0_sel:WORD_1 src1_sel:DWORD
	v_lshrrev_b32_e32 v52, 16, v19
	v_add_f16_sdwa v15, v21, v18 dst_sel:DWORD dst_unused:UNUSED_PAD src0_sel:WORD_1 src1_sel:WORD_1
	v_add_f16_e32 v13, v17, v8
	v_pk_add_f16 v8, v30, v17
	v_fmac_f16_e32 v14, 0xbb9c, v22
	v_add_f16_e32 v51, v10, v12
	v_fma_f16 v48, -0.5, v15, v52
	v_pk_mul_f16 v15, 0x3b9c, v27 op_sel_hi:[0,1]
	v_pk_fma_f16 v8, v8, 0.5, v19 op_sel_hi:[1,0,1] neg_lo:[1,0,0] neg_hi:[1,0,0]
	v_sub_f16_sdwa v12, v14, v10 dst_sel:DWORD dst_unused:UNUSED_PAD src0_sel:DWORD src1_sel:WORD_1
	v_pk_add_f16 v14, v21, v30 neg_lo:[0,1] neg_hi:[0,1]
	v_pk_add_f16 v22, v18, v17 neg_lo:[0,1] neg_hi:[0,1]
	v_pk_mul_f16 v55, 0x38b4, v26 op_sel_hi:[0,1]
	v_pk_add_f16 v29, v8, v15 op_sel:[0,1] op_sel_hi:[1,0]
	v_pk_add_f16 v8, v8, v15 op_sel:[0,1] op_sel_hi:[1,0] neg_lo:[0,1] neg_hi:[0,1]
	v_fmamk_f16 v53, v26, 0xbb9c, v48
	v_pk_add_f16 v14, v14, v22
	v_fmac_f16_e32 v48, 0x3b9c, v26
	v_pk_add_f16 v15, v29, v55 op_sel:[0,1] op_sel_hi:[1,0] neg_lo:[0,1] neg_hi:[0,1]
	v_pk_add_f16 v8, v55, v8 op_sel:[1,0] op_sel_hi:[0,1]
	v_fmac_f16_e32 v53, 0xb8b4, v27
	v_sub_f16_sdwa v19, v30, v21 dst_sel:DWORD dst_unused:UNUSED_PAD src0_sel:WORD_1 src1_sel:WORD_1
	v_fmac_f16_e32 v48, 0x38b4, v27
	v_pk_fma_f16 v55, 0x34f2, v14, v15 op_sel_hi:[0,1,1]
	v_pk_fma_f16 v56, 0x34f2, v14, v8 op_sel_hi:[0,1,1]
	v_pk_add_f16 v14, v45, v46
	v_pk_add_f16 v15, v41, v39 neg_lo:[0,1] neg_hi:[0,1]
	v_sub_f16_sdwa v20, v17, v18 dst_sel:DWORD dst_unused:UNUSED_PAD src0_sel:WORD_1 src1_sel:WORD_1
	v_add_f16_e32 v54, v10, v12
	v_mov_b32_e32 v10, 0x3b9c
	v_pk_fma_f16 v14, v14, 0.5, v16 op_sel_hi:[1,0,0] neg_lo:[1,0,0] neg_hi:[1,0,0]
	v_pk_mul_f16 v16, 0x3b9c, v15 op_sel_hi:[0,1]
	v_pk_add_f16 v29, v45, v45 op_sel:[0,1] op_sel_hi:[1,0] neg_lo:[0,1] neg_hi:[0,1]
	v_pk_add_f16 v58, v46, v46 op_sel:[0,1] op_sel_hi:[1,0] neg_lo:[0,1] neg_hi:[0,1]
	v_pk_mul_f16 v59, 0x38b4, v15 op_sel_hi:[0,1]
	v_add_f16_e32 v19, v19, v20
	v_pk_add_f16 v27, v14, v16 op_sel:[0,1] op_sel_hi:[1,0]
	v_pk_add_f16 v16, v14, v16 op_sel:[0,1] op_sel_hi:[1,0] neg_lo:[0,1] neg_hi:[0,1]
	v_mul_f16_sdwa v26, v55, v10 dst_sel:DWORD dst_unused:UNUSED_PAD src0_sel:WORD_1 src1_sel:DWORD
	v_mul_f16_e32 v8, 0x3a79, v54
	v_fmac_f16_e32 v53, 0x34f2, v19
	v_fmac_f16_e32 v48, 0x34f2, v19
	v_alignbit_b32 v60, v27, v16, 16
	v_alignbit_b32 v16, v16, v27, 16
	v_pk_add_f16 v27, v29, v58
	v_pk_mul_f16 v29, 0x34f23a79, v47
	v_mul_f16_e32 v19, 0x3a79, v51
	v_pk_add_f16 v58, v60, v59 op_sel:[0,1] op_sel_hi:[1,0] neg_lo:[0,1] neg_hi:[0,1]
	v_pk_add_f16 v16, v59, v16 op_sel:[1,0] op_sel_hi:[0,1]
	v_pk_mul_f16 v59, 0x34f23a79, v50
	v_mul_f16_e32 v10, 0x34f2, v55
	v_lshrrev_b32_e32 v12, 16, v56
	v_fmac_f16_e32 v26, 0x34f2, v56
	v_mul_u32_u24_e32 v60, 10, v3
	v_pk_fma_f16 v29, 0x3b9c38b4, v57, v29 neg_lo:[0,0,1] neg_hi:[0,0,1]
	v_pk_fma_f16 v61, 0x34f2, v27, v58 op_sel_hi:[0,1,1]
	v_pk_fma_f16 v27, 0x34f2, v27, v16 op_sel_hi:[0,1,1]
	v_pk_fma_f16 v58, 0x3b9c38b4, v49, v59
	v_cndmask_b32_e64 v0, 0, 0x780, s0
	v_fma_f16 v20, v48, 0x38b4, -v8
	v_fma_f16 v22, v12, 0x3b9c, -v10
	v_fmac_f16_e32 v19, 0x38b4, v53
	v_add_f16_e32 v8, v23, v26
	v_sub_f16_e32 v16, v23, v26
	v_lshl_add_u32 v23, v60, 1, 0
	v_pk_add_f16 v26, v61, v29
	v_pack_b32_f16 v59, v24, v27
	v_pack_b32_f16 v60, v25, v58
	v_perm_b32 v62, v61, v27, 0x7060302
	v_perm_b32 v63, v29, v58, 0x7060302
	v_add_f16_e32 v28, v24, v25
	v_add_f16_e32 v10, v7, v20
	;; [unrolled: 1-line block ×3, first 2 shown]
	v_sub_f16_e32 v14, v11, v13
	v_sub_f16_e32 v15, v9, v19
	v_pk_add_f16 v24, v27, v58
	v_lshl_add_u32 v58, v0, 1, v23
	v_cmp_gt_u32_e64 s1, 0x48, v3
	v_alignbit_b32 v25, v26, v26, 16
	v_pk_add_f16 v26, v59, v60 neg_lo:[0,1] neg_hi:[0,1]
	v_pk_add_f16 v27, v62, v63 neg_lo:[0,1] neg_hi:[0,1]
	v_sub_f16_e32 v29, v61, v29
	ds_write_b16 v58, v28
	ds_write_b128 v58, v[24:27] offset:2
	ds_write_b16 v58, v29 offset:18
	s_and_saveexec_b32 s0, s1
	s_cbranch_execz .LBB0_17
; %bb.16:
	v_add_f16_e32 v9, v9, v19
	v_add_f16_e32 v11, v13, v11
	v_sub_f16_e32 v7, v7, v20
	v_sub_f16_e32 v4, v4, v22
	v_add_nc_u32_e32 v13, 0x960, v58
	v_perm_b32 v19, v12, v8, 0x5040100
	v_pack_b32_f16 v9, v11, v9
	v_add_nc_u32_e32 v11, 0x968, v58
	v_perm_b32 v20, v16, v15, 0x5040100
	v_perm_b32 v22, v14, v10, 0x5040100
	v_pack_b32_f16 v4, v4, v7
	ds_write2_b32 v13, v9, v19 offset1:1
	ds_write2_b32 v11, v22, v20 offset1:1
	ds_write_b32 v58, v4 offset:2416
.LBB0_17:
	s_or_b32 exec_lo, exec_lo, s0
	v_lshlrev_b32_e32 v4, 1, v0
	v_lshlrev_b32_e32 v7, 1, v3
	v_mul_i32_i24_e32 v9, 0xffffffee, v3
	s_waitcnt lgkmcnt(0)
	s_barrier
	buffer_gl0_inv
	v_add3_u32 v0, 0, v4, v7
	v_add3_u32 v9, v23, v9, v4
	v_cmp_gt_u32_e64 s0, 0x50, v3
	ds_read_u16 v11, v0
	ds_read_u16 v24, v9 offset:2560
	ds_read_u16 v20, v9 offset:2160
	;; [unrolled: 1-line block ×11, first 2 shown]
	s_and_saveexec_b32 s4, s0
	s_cbranch_execz .LBB0_19
; %bb.18:
	ds_read_u16 v8, v9 offset:480
	ds_read_u16 v12, v9 offset:1120
	ds_read_u16 v10, v9 offset:1760
	ds_read_u16 v14, v9 offset:2400
	ds_read_u16 v15, v9 offset:3040
	ds_read_u16 v16, v9 offset:3680
.LBB0_19:
	s_or_b32 exec_lo, exec_lo, s4
	v_pk_add_f16 v59, v41, v39
	v_add_f16_e32 v60, v41, v43
	v_pk_add_f16 v45, v45, v46 neg_lo:[0,1] neg_hi:[0,1]
	v_add_f16_e32 v44, v42, v44
	v_pk_add_f16 v46, v41, v41 op_sel:[0,1] op_sel_hi:[1,0] neg_lo:[0,1] neg_hi:[0,1]
	v_pk_fma_f16 v43, v59, -0.5, v43 op_sel_hi:[1,0,0]
	v_pk_add_f16 v59, v39, v39 op_sel:[0,1] op_sel_hi:[1,0] neg_lo:[0,1] neg_hi:[0,1]
	v_add_f16_sdwa v41, v60, v41 dst_sel:DWORD dst_unused:UNUSED_PAD src0_sel:DWORD src1_sel:WORD_1
	v_add_f16_sdwa v42, v44, v42 dst_sel:DWORD dst_unused:UNUSED_PAD src0_sel:DWORD src1_sel:WORD_1
	v_pk_mul_f16 v44, 0x38b4, v45 op_sel_hi:[0,1]
	v_pk_fma_f16 v61, 0x3b9c, v45, v43 op_sel:[0,0,1] op_sel_hi:[0,1,0] neg_lo:[0,1,0] neg_hi:[0,1,0]
	v_pk_fma_f16 v62, 0x3b9c, v45, v43 op_sel:[0,0,1] op_sel_hi:[0,1,0]
	v_pk_mul_f16 v57, 0x34f23a79, v57
	v_lshrrev_b32_e32 v43, 16, v38
	v_pk_add_f16 v46, v46, v59
	v_add_f16_sdwa v41, v41, v39 dst_sel:DWORD dst_unused:UNUSED_PAD src0_sel:DWORD src1_sel:WORD_1
	v_bfi_b32 v45, 0xffff, v61, v62
	v_add_f16_sdwa v42, v42, v40 dst_sel:DWORD dst_unused:UNUSED_PAD src0_sel:DWORD src1_sel:WORD_1
	v_bfi_b32 v59, 0xffff, v62, v61
	v_pk_mul_f16 v50, 0xbb9cb8b4, v50
	v_add_f16_e32 v39, v41, v39
	v_pk_add_f16 v45, v45, v44 op_sel:[0,1] op_sel_hi:[1,0] neg_lo:[0,1] neg_hi:[0,1]
	v_add_f16_e32 v40, v42, v40
	v_pk_add_f16 v41, v44, v59 op_sel:[1,0] op_sel_hi:[0,1]
	v_pk_fma_f16 v49, 0x34f23a79, v49, v50
	v_sub_f16_e32 v32, v31, v32
	v_pk_fma_f16 v42, 0x34f2, v46, v45 op_sel_hi:[0,1,1]
	v_pk_fma_f16 v45, 0xbb9cb8b4, v47, v57 neg_lo:[0,0,1] neg_hi:[0,0,1]
	v_add_f16_e32 v47, v43, v34
	v_pk_fma_f16 v41, 0x34f2, v46, v41 op_sel_hi:[0,1,1]
	v_add_f16_e32 v50, v39, v40
	v_pk_add_f16 v44, v42, v49
	v_pack_b32_f16 v39, v39, v42
	v_add_f16_e32 v46, v47, v35
	v_add_f16_e32 v47, v34, v37
	v_pack_b32_f16 v40, v40, v49
	v_perm_b32 v42, v41, v42, 0x7060302
	v_perm_b32 v49, v45, v49, 0x7060302
	v_add_f16_e32 v57, v46, v36
	v_mul_f16_e32 v59, 0.5, v47
	v_pk_add_f16 v46, v39, v40 neg_lo:[0,1] neg_hi:[0,1]
	v_add_f16_e32 v40, v35, v36
	v_pk_add_f16 v47, v42, v49 neg_lo:[0,1] neg_hi:[0,1]
	v_add_f16_e32 v39, v37, v57
	v_perm_b32 v33, v59, v33, 0x5040100
	v_sub_f16_e32 v31, v34, v35
	v_sub_f16_e32 v42, v37, v36
	;; [unrolled: 1-line block ×4, first 2 shown]
	v_pk_add_f16 v33, v38, v33 neg_lo:[0,1] neg_hi:[0,1]
	v_mul_f16_e32 v36, 0x3b9c, v32
	v_add_f16_e32 v38, v31, v42
	v_fmac_f16_e32 v43, -0.5, v40
	v_add_f16_e32 v31, v34, v35
	v_lshrrev_b32_e32 v37, 16, v33
	v_pack_b32_f16 v34, 0x38b4, v36
	v_pk_mul_f16 v35, 0x38b4, v33
	v_add_f16_sdwa v30, v52, v30 dst_sel:DWORD dst_unused:UNUSED_PAD src0_sel:DWORD src1_sel:WORD_1
	v_mul_f16_e32 v36, 0x34f2, v31
	v_fmac_f16_e32 v37, 0xbb9c, v32
	v_pk_add_f16 v40, v33, v34
	v_lshlrev_b32_e32 v42, 16, v35
	v_add_f16_sdwa v30, v30, v21 dst_sel:DWORD dst_unused:UNUSED_PAD src0_sel:DWORD src1_sel:WORD_1
	v_fmamk_f16 v21, v33, 0xbb9c, v43
	v_pack_b32_f16 v35, v37, v35
	v_mul_f16_e32 v31, 0xb8b4, v51
	v_pk_add_f16 v37, v40, v42 neg_lo:[0,1] neg_hi:[0,1]
	v_add_f16_sdwa v30, v30, v18 dst_sel:DWORD dst_unused:UNUSED_PAD src0_sel:DWORD src1_sel:WORD_1
	v_fmac_f16_e32 v21, 0xb8b4, v32
	v_pk_fma_f16 v34, v33, v34, v35
	v_fmac_f16_e32 v43, 0x3b9c, v33
	v_pk_mul_f16 v33, 0x34f23b9c, v56
	v_fmac_f16_e32 v31, 0x3a79, v53
	v_fmac_f16_e32 v21, 0x34f2, v38
	v_bfi_b32 v18, 0xffff, v34, v37
	v_fmac_f16_e32 v43, 0x38b4, v32
	v_mul_f16_e32 v34, 0x3a79, v48
	v_pk_fma_f16 v32, 0x34f2bb9c, v55, v33 op_sel:[0,0,1] op_sel_hi:[1,1,0] neg_lo:[0,0,1] neg_hi:[0,0,1]
	v_add_f16_sdwa v33, v17, v30 dst_sel:DWORD dst_unused:UNUSED_PAD src0_sel:WORD_1 src1_sel:DWORD
	v_pk_add_f16 v18, v36, v18 op_sel_hi:[0,1]
	v_fmac_f16_e32 v43, 0x34f2, v38
	v_fma_f16 v17, v54, 0xb8b4, -v34
	v_bfi_b32 v36, 0xffff, v31, v32
	v_pk_add_f16 v60, v41, v45
	v_bfi_b32 v30, 0xffff, v21, v18
	v_pk_add_f16 v37, v18, v32
	v_add_f16_e32 v34, v43, v17
	v_sub_f16_e32 v35, v39, v33
	v_sub_f16_e32 v38, v41, v45
	v_pk_add_f16 v36, v30, v36 neg_lo:[0,1] neg_hi:[0,1]
	v_add_nc_u32_e32 v30, 0x78, v3
	v_alignbit_b32 v45, v60, v60, 16
	s_waitcnt lgkmcnt(0)
	s_barrier
	buffer_gl0_inv
	ds_write_b16 v58, v50
	ds_write_b128 v58, v[44:47] offset:2
	ds_write_b16 v58, v38 offset:18
	s_and_saveexec_b32 s4, s1
	s_cbranch_execz .LBB0_21
; %bb.20:
	v_mul_u32_u24_e32 v38, 10, v30
	v_add_f16_e32 v33, v33, v39
	v_add_f16_e32 v21, v21, v31
	v_perm_b32 v18, v43, v18, 0x5040100
	v_perm_b32 v17, v17, v32, 0x5040100
	v_lshlrev_b32_e32 v31, 1, v38
	v_alignbit_b32 v32, v37, v37, 16
	v_pack_b32_f16 v21, v33, v21
	v_perm_b32 v33, v35, v34, 0x5040100
	v_pk_add_f16 v17, v18, v17 neg_lo:[0,1] neg_hi:[0,1]
	v_add3_u32 v31, 0, v31, v4
	ds_write2_b32 v31, v21, v32 offset1:1
	ds_write2_b32 v31, v33, v36 offset0:2 offset1:3
	ds_write_b32 v31, v17 offset:16
.LBB0_21:
	s_or_b32 exec_lo, exec_lo, s4
	s_waitcnt lgkmcnt(0)
	s_barrier
	buffer_gl0_inv
	ds_read_u16 v21, v0
	ds_read_u16 v45, v9 offset:2560
	ds_read_u16 v40, v9 offset:2160
	;; [unrolled: 1-line block ×11, first 2 shown]
	v_lshrrev_b32_e32 v17, 16, v37
	v_lshrrev_b32_e32 v38, 16, v36
	s_and_saveexec_b32 s1, s0
	s_cbranch_execz .LBB0_23
; %bb.22:
	ds_read_u16 v17, v9 offset:480
	ds_read_u16 v37, v9 offset:1120
	;; [unrolled: 1-line block ×6, first 2 shown]
.LBB0_23:
	s_or_b32 exec_lo, exec_lo, s1
	v_and_b32_e32 v31, 0xff, v3
	v_and_b32_e32 v32, 0xff, v30
	v_mov_b32_e32 v39, 5
	v_mov_b32_e32 v52, 0xcccd
	v_mul_lo_u16 v31, 0xcd, v31
	v_mul_lo_u16 v32, 0xcd, v32
	v_lshrrev_b16 v31, 11, v31
	v_lshrrev_b16 v32, 11, v32
	v_mul_lo_u16 v33, v31, 10
	v_mul_lo_u16 v50, v32, 10
	v_and_b32_e32 v31, 0xffff, v31
	v_and_b32_e32 v32, 0xffff, v32
	v_sub_nc_u16 v33, v3, v33
	v_sub_nc_u16 v30, v30, v50
	v_mad_u32_u24 v32, 0x78, v32, 0
	v_mul_u32_u24_sdwa v51, v33, v39 dst_sel:DWORD dst_unused:UNUSED_PAD src0_sel:BYTE_0 src1_sel:DWORD
	v_mul_u32_u24_sdwa v39, v30, v39 dst_sel:DWORD dst_unused:UNUSED_PAD src0_sel:BYTE_0 src1_sel:DWORD
	v_lshlrev_b32_e32 v50, 2, v51
	v_add_nc_u32_e32 v51, 0xf0, v3
	v_lshlrev_b32_e32 v39, 2, v39
	s_clause 0x1
	global_load_dwordx4 v[61:64], v50, s[12:13]
	global_load_dword v73, v50, s[12:13] offset:16
	v_mul_u32_u24_sdwa v52, v51, v52 dst_sel:DWORD dst_unused:UNUSED_PAD src0_sel:WORD_0 src1_sel:DWORD
	s_clause 0x1
	global_load_dwordx4 v[65:68], v39, s[12:13]
	global_load_dword v74, v39, s[12:13] offset:16
	v_lshrrev_b32_e32 v50, 19, v52
	v_mul_lo_u16 v52, v50, 10
	v_sub_nc_u16 v39, v51, v52
	v_mad_u32_u24 v52, 0x78, v31, 0
	v_mul_lo_u16 v31, v50, 60
	v_and_b32_e32 v51, 0xffff, v39
	v_mul_u32_u24_e32 v39, 5, v51
	v_lshlrev_b32_e32 v39, 2, v39
	s_clause 0x1
	global_load_dwordx4 v[69:72], v39, s[12:13]
	global_load_dword v75, v39, s[12:13] offset:16
	v_mov_b32_e32 v39, 1
	s_waitcnt vmcnt(0) lgkmcnt(0)
	s_barrier
	buffer_gl0_inv
	v_lshlrev_b32_sdwa v33, v39, v33 dst_sel:DWORD dst_unused:UNUSED_PAD src0_sel:DWORD src1_sel:BYTE_0
	v_lshlrev_b32_sdwa v30, v39, v30 dst_sel:DWORD dst_unused:UNUSED_PAD src0_sel:DWORD src1_sel:BYTE_0
	v_add3_u32 v33, v52, v33, v4
	v_add3_u32 v32, v32, v30, v4
	v_lshl_add_u32 v30, v51, 1, 0
	v_mul_f16_sdwa v60, v49, v61 dst_sel:DWORD dst_unused:UNUSED_PAD src0_sel:DWORD src1_sel:WORD_1
	v_mul_f16_sdwa v76, v47, v62 dst_sel:DWORD dst_unused:UNUSED_PAD src0_sel:DWORD src1_sel:WORD_1
	;; [unrolled: 1-line block ×19, first 2 shown]
	v_fma_f16 v60, v29, v61, -v60
	v_fma_f16 v27, v27, v62, -v76
	v_fmac_f16_e32 v52, v47, v62
	v_fma_f16 v47, v26, v63, -v77
	v_fmac_f16_e32 v54, v46, v63
	;; [unrolled: 2-line block ×3, first 2 shown]
	v_fmac_f16_e32 v57, v48, v73
	v_fmac_f16_e32 v56, v43, v66
	;; [unrolled: 1-line block ×3, first 2 shown]
	v_fma_f16 v45, v19, v74, -v84
	v_mul_f16_sdwa v58, v23, v68 dst_sel:DWORD dst_unused:UNUSED_PAD src0_sel:DWORD src1_sel:WORD_1
	v_fma_f16 v28, v28, v73, -v79
	v_fmac_f16_e32 v51, v44, v65
	v_fma_f16 v44, v20, v67, -v82
	v_fma_f16 v20, v23, v68, -v83
	v_fmac_f16_e32 v59, v41, v74
	v_mul_f16_sdwa v19, v37, v69 dst_sel:DWORD dst_unused:UNUSED_PAD src0_sel:DWORD src1_sel:WORD_1
	v_mul_f16_sdwa v43, v10, v70 dst_sel:DWORD dst_unused:UNUSED_PAD src0_sel:DWORD src1_sel:WORD_1
	;; [unrolled: 1-line block ×7, first 2 shown]
	v_fmac_f16_e32 v50, v49, v61
	v_fma_f16 v24, v25, v65, -v80
	v_fma_f16 v22, v22, v66, -v81
	v_mul_f16_sdwa v25, v35, v71 dst_sel:DWORD dst_unused:UNUSED_PAD src0_sel:DWORD src1_sel:WORD_1
	v_mul_f16_sdwa v29, v16, v75 dst_sel:DWORD dst_unused:UNUSED_PAD src0_sel:DWORD src1_sel:WORD_1
	v_fma_f16 v19, v12, v69, -v19
	v_fmac_f16_e32 v43, v34, v70
	v_fma_f16 v34, v15, v72, -v46
	v_fmac_f16_e32 v40, v36, v72
	v_add_f16_e32 v12, v27, v26
	v_add_f16_e32 v15, v60, v47
	;; [unrolled: 1-line block ×3, first 2 shown]
	v_fmac_f16_e32 v58, v42, v68
	v_mul_f16_sdwa v42, v14, v71 dst_sel:DWORD dst_unused:UNUSED_PAD src0_sel:DWORD src1_sel:WORD_1
	v_fmac_f16_e32 v41, v37, v69
	v_fma_f16 v37, v10, v70, -v23
	v_fma_f16 v23, v16, v75, -v48
	v_add_f16_e32 v16, v47, v28
	v_fma_f16 v25, v14, v71, -v25
	v_fmac_f16_e32 v29, v38, v75
	v_add_f16_e32 v10, v11, v27
	v_sub_f16_e32 v38, v47, v28
	v_add_f16_e32 v46, v13, v22
	v_add_f16_e32 v61, v44, v45
	;; [unrolled: 1-line block ×3, first 2 shown]
	v_fmac_f16_e32 v11, -0.5, v12
	v_add_f16_e32 v12, v15, v28
	v_fma_f16 v15, -0.5, v36, v50
	v_fmac_f16_e32 v42, v35, v71
	v_sub_f16_e32 v35, v54, v57
	v_add_f16_e32 v47, v22, v20
	v_add_f16_e32 v49, v24, v44
	v_fmac_f16_e32 v60, -0.5, v16
	v_sub_f16_e32 v14, v52, v53
	v_sub_f16_e32 v62, v55, v59
	;; [unrolled: 1-line block ×3, first 2 shown]
	v_add_f16_e32 v64, v10, v26
	v_add_f16_e32 v36, v46, v20
	v_fmac_f16_e32 v24, -0.5, v61
	v_fma_f16 v10, -0.5, v63, v51
	v_add_f16_e32 v46, v25, v23
	v_fmamk_f16 v16, v38, 0xbaee, v15
	v_sub_f16_e32 v48, v56, v58
	v_fmac_f16_e32 v13, -0.5, v47
	v_add_f16_e32 v45, v49, v45
	v_add_f16_e32 v49, v42, v29
	v_fmamk_f16 v28, v35, 0x3aee, v60
	v_fmac_f16_e32 v60, 0xbaee, v35
	v_fmamk_f16 v63, v14, 0x3aee, v11
	v_fmac_f16_e32 v11, 0xbaee, v14
	v_add_f16_e32 v65, v64, v12
	v_sub_f16_e32 v64, v64, v12
	v_fmamk_f16 v14, v62, 0x3aee, v24
	v_fmac_f16_e32 v24, 0xbaee, v62
	v_fmamk_f16 v12, v44, 0xbaee, v10
	v_fma_f16 v35, -0.5, v46, v19
	v_mul_f16_e32 v46, 0x3aee, v16
	v_fmac_f16_e32 v15, 0x3aee, v38
	v_fmamk_f16 v66, v48, 0x3aee, v13
	v_fmac_f16_e32 v13, 0xbaee, v48
	v_add_f16_e32 v48, v36, v45
	v_sub_f16_e32 v45, v36, v45
	v_fma_f16 v36, -0.5, v49, v41
	v_mul_f16_e32 v49, -0.5, v60
	v_sub_f16_e32 v47, v42, v29
	v_sub_f16_e32 v61, v25, v23
	v_fmac_f16_e32 v10, 0x3aee, v44
	v_mul_f16_e32 v62, 0x3aee, v12
	v_mul_f16_e32 v67, -0.5, v24
	v_fmac_f16_e32 v46, 0.5, v28
	v_fmac_f16_e32 v49, 0x3aee, v15
	v_fmamk_f16 v44, v47, 0x3aee, v35
	v_fmac_f16_e32 v35, 0xbaee, v47
	v_fmamk_f16 v38, v61, 0xbaee, v36
	v_fmac_f16_e32 v36, 0x3aee, v61
	v_fmac_f16_e32 v62, 0.5, v14
	v_fmac_f16_e32 v67, 0x3aee, v10
	v_add_f16_e32 v47, v63, v46
	v_add_f16_e32 v61, v11, v49
	v_sub_f16_e32 v46, v63, v46
	v_sub_f16_e32 v11, v11, v49
	ds_write_b16 v33, v65
	ds_write_b16 v33, v64 offset:60
	v_add_f16_e32 v49, v66, v62
	v_add_f16_e32 v63, v13, v67
	v_sub_f16_e32 v62, v66, v62
	v_sub_f16_e32 v13, v13, v67
	ds_write_b16 v33, v47 offset:20
	ds_write_b16 v33, v61 offset:40
	;; [unrolled: 1-line block ×4, first 2 shown]
	ds_write_b16 v32, v48
	ds_write_b16 v32, v49 offset:20
	ds_write_b16 v32, v63 offset:40
	;; [unrolled: 1-line block ×5, first 2 shown]
	s_and_saveexec_b32 s1, s0
	s_cbranch_execz .LBB0_25
; %bb.24:
	v_add_f16_e32 v11, v37, v34
	v_add_f16_e32 v46, v8, v37
	v_add_f16_e32 v19, v19, v25
	v_sub_f16_e32 v13, v43, v40
	v_mul_f16_e32 v45, -0.5, v35
	v_fma_f16 v8, -0.5, v11, v8
	v_mul_f16_e32 v11, 0x3aee, v38
	v_add_f16_e32 v25, v46, v34
	v_add_f16_e32 v19, v19, v23
	v_lshlrev_b32_sdwa v39, v39, v31 dst_sel:DWORD dst_unused:UNUSED_PAD src0_sel:DWORD src1_sel:WORD_0
	v_fmamk_f16 v23, v13, 0xbaee, v8
	v_fmac_f16_e32 v11, 0.5, v44
	v_fmac_f16_e32 v8, 0x3aee, v13
	v_fmac_f16_e32 v45, 0x3aee, v36
	v_add_f16_e32 v13, v25, v19
	v_add3_u32 v39, v30, v39, v4
	v_sub_f16_e32 v19, v25, v19
	v_add_f16_e32 v47, v8, v11
	v_sub_f16_e32 v46, v23, v45
	v_add_f16_e32 v23, v23, v45
	v_sub_f16_e32 v8, v8, v11
	ds_write_b16 v39, v13
	ds_write_b16 v39, v47 offset:20
	ds_write_b16 v39, v23 offset:40
	;; [unrolled: 1-line block ×5, first 2 shown]
.LBB0_25:
	s_or_b32 exec_lo, exec_lo, s1
	v_add_f16_e32 v8, v52, v53
	v_add_f16_e32 v11, v21, v52
	v_sub_f16_e32 v13, v27, v26
	v_add_f16_e32 v19, v50, v54
	v_mul_f16_e32 v23, 0xbaee, v28
	v_fmac_f16_e32 v21, -0.5, v8
	v_mul_f16_e32 v8, -0.5, v15
	v_add_f16_e32 v11, v11, v53
	v_add_f16_e32 v15, v19, v57
	v_fmac_f16_e32 v23, 0.5, v16
	v_fmamk_f16 v16, v13, 0xbaee, v21
	v_fmac_f16_e32 v21, 0x3aee, v13
	v_add_f16_e32 v13, v56, v58
	v_fmac_f16_e32 v8, 0xbaee, v60
	v_add_f16_e32 v39, v11, v15
	v_sub_f16_e32 v47, v11, v15
	v_add_f16_e32 v11, v18, v56
	v_fmac_f16_e32 v18, -0.5, v13
	v_sub_f16_e32 v13, v22, v20
	v_add_f16_e32 v15, v51, v55
	v_mul_f16_e32 v48, 0xbaee, v14
	v_mul_f16_e32 v53, -0.5, v10
	v_add3_u32 v10, 0, v7, v4
	v_add_f16_e32 v45, v16, v23
	v_add_f16_e32 v46, v21, v8
	v_sub_f16_e32 v49, v16, v23
	v_add_f16_e32 v50, v11, v58
	v_fmamk_f16 v51, v13, 0xbaee, v18
	v_add_f16_e32 v52, v15, v59
	v_fmac_f16_e32 v48, 0.5, v12
	v_sub_f16_e32 v8, v21, v8
	v_fmac_f16_e32 v18, 0x3aee, v13
	v_fmac_f16_e32 v53, 0xbaee, v24
	s_waitcnt lgkmcnt(0)
	s_barrier
	buffer_gl0_inv
	ds_read_u16 v24, v10 offset:720
	ds_read_u16 v23, v10 offset:960
	;; [unrolled: 1-line block ×3, first 2 shown]
	ds_read_u16 v11, v0
	ds_read_u16 v27, v9 offset:240
	ds_read_u16 v16, v9 offset:1920
	;; [unrolled: 1-line block ×12, first 2 shown]
	v_add_f16_e32 v54, v50, v52
	v_add_f16_e32 v55, v51, v48
	;; [unrolled: 1-line block ×3, first 2 shown]
	v_sub_f16_e32 v50, v50, v52
	v_sub_f16_e32 v48, v51, v48
	;; [unrolled: 1-line block ×3, first 2 shown]
	s_waitcnt lgkmcnt(0)
	s_barrier
	buffer_gl0_inv
	ds_write_b16 v33, v39
	ds_write_b16 v33, v45 offset:20
	ds_write_b16 v33, v46 offset:40
	;; [unrolled: 1-line block ×5, first 2 shown]
	ds_write_b16 v32, v54
	ds_write_b16 v32, v55 offset:20
	ds_write_b16 v32, v7 offset:40
	;; [unrolled: 1-line block ×5, first 2 shown]
	s_and_saveexec_b32 s1, s0
	s_cbranch_execz .LBB0_27
; %bb.26:
	v_add_f16_e32 v7, v43, v40
	v_add_f16_e32 v8, v17, v43
	v_sub_f16_e32 v18, v37, v34
	v_add_f16_e32 v32, v41, v42
	v_mov_b32_e32 v34, 1
	v_fmac_f16_e32 v17, -0.5, v7
	v_mul_f16_e32 v7, 0xbaee, v44
	v_mul_f16_e32 v33, -0.5, v36
	v_add_f16_e32 v8, v8, v40
	v_fmamk_f16 v36, v18, 0xbaee, v17
	v_fmamk_f16 v17, v18, 0x3aee, v17
	v_add_f16_e32 v18, v32, v29
	v_lshlrev_b32_sdwa v29, v34, v31 dst_sel:DWORD dst_unused:UNUSED_PAD src0_sel:DWORD src1_sel:WORD_0
	v_fmac_f16_e32 v7, 0.5, v38
	v_fmac_f16_e32 v33, 0xbaee, v35
	v_add_f16_e32 v31, v8, v18
	v_add3_u32 v29, v30, v29, v4
	v_add_f16_e32 v32, v36, v7
	v_add_f16_e32 v30, v17, v33
	v_sub_f16_e32 v8, v8, v18
	v_sub_f16_e32 v7, v36, v7
	;; [unrolled: 1-line block ×3, first 2 shown]
	ds_write_b16 v29, v31
	ds_write_b16 v29, v32 offset:20
	ds_write_b16 v29, v30 offset:40
	ds_write_b16 v29, v8 offset:60
	ds_write_b16 v29, v7 offset:80
	ds_write_b16 v29, v17 offset:100
.LBB0_27:
	s_or_b32 exec_lo, exec_lo, s1
	v_subrev_nc_u32_e32 v7, 60, v3
	v_cmp_gt_u32_e64 s0, 60, v3
	v_mov_b32_e32 v8, 0
	s_waitcnt lgkmcnt(0)
	s_barrier
	buffer_gl0_inv
	v_cndmask_b32_e64 v44, v7, v3, s0
	v_mul_i32_i24_e32 v7, 15, v44
	v_lshlrev_b64 v[17:18], 2, v[7:8]
	v_add_co_u32 v17, s0, s12, v17
	v_add_co_ci_u32_e64 v18, s0, s13, v18, s0
	v_cmp_lt_u32_e64 s0, 59, v3
	s_clause 0x3
	global_load_dwordx4 v[29:32], v[17:18], off offset:200
	global_load_dwordx4 v[33:36], v[17:18], off offset:216
	;; [unrolled: 1-line block ×3, first 2 shown]
	global_load_dwordx3 v[41:43], v[17:18], off offset:248
	ds_read_u16 v17, v0
	ds_read_u16 v18, v9 offset:240
	v_cndmask_b32_e64 v7, 0, 0x3c0, s0
	v_or_b32_e32 v7, v7, v44
	ds_read_u16 v44, v10 offset:480
	ds_read_u16 v45, v10 offset:720
	;; [unrolled: 1-line block ×14, first 2 shown]
	s_waitcnt vmcnt(0) lgkmcnt(0)
	s_barrier
	v_lshlrev_b32_e32 v7, 1, v7
	buffer_gl0_inv
	v_add3_u32 v4, 0, v7, v4
	v_mul_f16_sdwa v7, v18, v29 dst_sel:DWORD dst_unused:UNUSED_PAD src0_sel:DWORD src1_sel:WORD_1
	v_mul_f16_sdwa v58, v27, v29 dst_sel:DWORD dst_unused:UNUSED_PAD src0_sel:DWORD src1_sel:WORD_1
	;; [unrolled: 1-line block ×30, first 2 shown]
	v_fma_f16 v7, v27, v29, -v7
	v_fmac_f16_e32 v58, v18, v29
	v_fma_f16 v18, v28, v30, -v59
	v_fma_f16 v24, v24, v31, -v61
	;; [unrolled: 1-line block ×3, first 2 shown]
	v_fmac_f16_e32 v64, v46, v32
	v_fma_f16 v21, v21, v33, -v65
	v_fmac_f16_e32 v66, v47, v33
	v_fma_f16 v26, v26, v34, -v67
	;; [unrolled: 2-line block ×4, first 2 shown]
	v_fma_f16 v19, v19, v37, -v73
	v_fma_f16 v22, v22, v38, -v75
	;; [unrolled: 1-line block ×4, first 2 shown]
	v_fmac_f16_e32 v80, v54, v40
	v_fma_f16 v14, v14, v41, -v81
	v_fmac_f16_e32 v82, v55, v41
	v_fma_f16 v13, v13, v42, -v83
	;; [unrolled: 2-line block ×3, first 2 shown]
	v_fmac_f16_e32 v86, v57, v43
	v_fmac_f16_e32 v60, v44, v30
	;; [unrolled: 1-line block ×7, first 2 shown]
	v_sub_f16_e32 v16, v11, v16
	v_sub_f16_e32 v15, v23, v15
	;; [unrolled: 1-line block ×16, first 2 shown]
	v_fma_f16 v11, v11, 2.0, -v16
	v_fma_f16 v23, v23, 2.0, -v15
	;; [unrolled: 1-line block ×12, first 2 shown]
	v_sub_f16_e32 v28, v16, v28
	v_sub_f16_e32 v30, v22, v30
	;; [unrolled: 1-line block ×4, first 2 shown]
	v_fma_f16 v17, v17, 2.0, -v27
	v_fma_f16 v36, v60, 2.0, -v29
	;; [unrolled: 1-line block ×4, first 2 shown]
	v_add_f16_e32 v15, v27, v15
	v_add_f16_e32 v13, v29, v13
	;; [unrolled: 1-line block ×4, first 2 shown]
	v_sub_f16_e32 v23, v11, v23
	v_fma_f16 v16, v16, 2.0, -v28
	v_sub_f16_e32 v26, v18, v26
	v_fma_f16 v22, v22, 2.0, -v30
	;; [unrolled: 2-line block ×4, first 2 shown]
	v_fmamk_f16 v42, v30, 0x39a8, v28
	v_sub_f16_e32 v35, v17, v35
	v_fma_f16 v27, v27, 2.0, -v15
	v_sub_f16_e32 v37, v36, v37
	v_fma_f16 v29, v29, 2.0, -v13
	;; [unrolled: 2-line block ×4, first 2 shown]
	v_fmamk_f16 v43, v13, 0x39a8, v15
	v_fmamk_f16 v44, v34, 0x39a8, v32
	;; [unrolled: 1-line block ×3, first 2 shown]
	v_fma_f16 v11, v11, 2.0, -v23
	v_fma_f16 v18, v18, 2.0, -v26
	;; [unrolled: 1-line block ×4, first 2 shown]
	v_fmamk_f16 v46, v22, 0xb9a8, v16
	v_fmac_f16_e32 v42, 0xb9a8, v13
	v_fmamk_f16 v13, v20, 0xb9a8, v19
	v_fma_f16 v17, v17, 2.0, -v35
	v_fma_f16 v36, v36, 2.0, -v37
	;; [unrolled: 1-line block ×4, first 2 shown]
	v_fmamk_f16 v47, v29, 0xb9a8, v27
	v_sub_f16_e32 v37, v23, v37
	v_fmac_f16_e32 v43, 0x39a8, v30
	v_fmamk_f16 v30, v33, 0xb9a8, v31
	v_sub_f16_e32 v41, v21, v41
	v_fmac_f16_e32 v44, 0xb9a8, v12
	v_fmac_f16_e32 v45, 0x39a8, v34
	v_add_f16_e32 v26, v35, v26
	v_add_f16_e32 v25, v39, v25
	v_sub_f16_e32 v12, v11, v18
	v_fmac_f16_e32 v46, 0xb9a8, v29
	v_sub_f16_e32 v24, v7, v24
	v_fmac_f16_e32 v13, 0xb9a8, v33
	;; [unrolled: 2-line block ×3, first 2 shown]
	v_fma_f16 v22, v23, 2.0, -v37
	v_sub_f16_e32 v29, v38, v40
	v_fmac_f16_e32 v30, 0x39a8, v20
	v_fma_f16 v20, v21, 2.0, -v41
	v_fma_f16 v28, v28, 2.0, -v42
	;; [unrolled: 1-line block ×7, first 2 shown]
	v_fmamk_f16 v33, v41, 0x39a8, v37
	v_fma_f16 v11, v11, 2.0, -v12
	v_fma_f16 v16, v16, 2.0, -v46
	v_fma_f16 v7, v7, 2.0, -v24
	v_fma_f16 v19, v19, 2.0, -v13
	v_fma_f16 v17, v17, 2.0, -v18
	v_fma_f16 v38, v38, 2.0, -v29
	v_fmamk_f16 v39, v20, 0xb9a8, v22
	v_fmamk_f16 v35, v44, 0x3b64, v42
	;; [unrolled: 1-line block ×4, first 2 shown]
	v_add_f16_e32 v50, v18, v24
	v_fmamk_f16 v24, v13, 0x361f, v46
	v_fmamk_f16 v34, v25, 0x39a8, v26
	v_fma_f16 v27, v27, 2.0, -v47
	v_fma_f16 v31, v31, 2.0, -v30
	v_fmamk_f16 v40, v21, 0xb9a8, v23
	v_sub_f16_e32 v29, v12, v29
	v_fmac_f16_e32 v33, 0xb9a8, v25
	v_sub_f16_e32 v7, v11, v7
	v_fmamk_f16 v25, v19, 0xbb64, v16
	v_fmamk_f16 v51, v30, 0x361f, v47
	v_sub_f16_e32 v38, v17, v38
	v_fmac_f16_e32 v39, 0xb9a8, v21
	v_fmac_f16_e32 v35, 0xb61f, v45
	;; [unrolled: 1-line block ×6, first 2 shown]
	v_fmamk_f16 v41, v31, 0xbb64, v27
	v_fmac_f16_e32 v40, 0x39a8, v20
	v_fma_f16 v12, v12, 2.0, -v29
	v_fma_f16 v11, v11, 2.0, -v7
	v_fmac_f16_e32 v25, 0xb61f, v31
	v_fmac_f16_e32 v51, 0x3b64, v13
	v_fma_f16 v13, v37, 2.0, -v33
	ds_write_b16 v4, v29 offset:1440
	ds_write_b16 v4, v33 offset:1680
	;; [unrolled: 1-line block ×3, first 2 shown]
	v_fma_f16 v29, v17, 2.0, -v38
	v_fma_f16 v17, v22, 2.0, -v39
	;; [unrolled: 1-line block ×8, first 2 shown]
	v_fmac_f16_e32 v41, 0x361f, v19
	v_fma_f16 v31, v23, 2.0, -v40
	ds_write_b16 v4, v12 offset:480
	ds_write_b16 v4, v13 offset:720
	ds_write_b16 v4, v14 offset:840
	ds_write_b16 v4, v7 offset:960
	ds_write_b16 v4, v39 offset:1200
	ds_write_b16 v4, v48 offset:1320
	ds_write_b16 v4, v24 offset:1560
	v_fma_f16 v7, v16, 2.0, -v25
	ds_write_b16 v4, v11
	ds_write_b16 v4, v17 offset:240
	ds_write_b16 v4, v18 offset:360
	;; [unrolled: 1-line block ×5, first 2 shown]
	s_waitcnt lgkmcnt(0)
	s_barrier
	buffer_gl0_inv
	ds_read_u16 v11, v0
	ds_read_u16 v12, v10 offset:480
	ds_read_u16 v13, v10 offset:720
	;; [unrolled: 1-line block ×15, first 2 shown]
	v_fmamk_f16 v36, v45, 0x3b64, v43
	v_fma_f16 v27, v27, 2.0, -v41
	v_fma_f16 v33, v47, 2.0, -v51
	s_waitcnt lgkmcnt(0)
	s_barrier
	v_fmac_f16_e32 v36, 0x361f, v44
	buffer_gl0_inv
	v_fma_f16 v37, v43, 2.0, -v36
	ds_write_b16 v4, v29
	ds_write_b16 v4, v27 offset:120
	ds_write_b16 v4, v31 offset:240
	;; [unrolled: 1-line block ×15, first 2 shown]
	s_waitcnt lgkmcnt(0)
	s_barrier
	buffer_gl0_inv
	s_and_saveexec_b32 s0, vcc_lo
	s_cbranch_execz .LBB0_29
; %bb.28:
	v_add_nc_u32_e32 v7, 0x348, v3
	v_add_nc_u32_e32 v31, 0x2d0, v3
	v_mov_b32_e32 v32, v8
	v_add_nc_u32_e32 v29, 0x258, v3
	v_mov_b32_e32 v30, v8
	v_lshlrev_b64 v[27:28], 2, v[7:8]
	v_mul_lo_u32 v6, s2, v6
	v_add_co_u32 v4, vcc_lo, s12, v27
	v_add_co_ci_u32_e32 v7, vcc_lo, s13, v28, vcc_lo
	v_lshlrev_b64 v[27:28], 2, v[31:32]
	v_add_co_u32 v31, vcc_lo, 0x800, v4
	v_add_co_ci_u32_e32 v32, vcc_lo, 0, v7, vcc_lo
	v_add_co_u32 v4, vcc_lo, s12, v27
	v_add_co_ci_u32_e32 v7, vcc_lo, s13, v28, vcc_lo
	v_lshlrev_b64 v[27:28], 2, v[29:30]
	v_add_co_u32 v29, vcc_lo, 0x800, v4
	v_mov_b32_e32 v4, v8
	v_add_co_ci_u32_e32 v30, vcc_lo, 0, v7, vcc_lo
	v_add_co_u32 v7, vcc_lo, s12, v27
	v_add_co_ci_u32_e32 v34, vcc_lo, s13, v28, vcc_lo
	v_lshlrev_b64 v[27:28], 2, v[3:4]
	v_add_co_u32 v33, vcc_lo, 0x800, v7
	v_add_co_ci_u32_e32 v34, vcc_lo, 0, v34, vcc_lo
	global_load_dword v49, v[31:32], off offset:1752
	v_add_co_u32 v4, vcc_lo, s12, v27
	v_add_co_ci_u32_e32 v7, vcc_lo, s13, v28, vcc_lo
	v_add_co_u32 v27, vcc_lo, 0x1000, v4
	v_add_co_ci_u32_e32 v28, vcc_lo, 0, v7, vcc_lo
	;; [unrolled: 2-line block ×3, first 2 shown]
	s_clause 0x6
	global_load_dword v50, v[29:30], off offset:1752
	global_load_dword v51, v[33:34], off offset:1752
	;; [unrolled: 1-line block ×7, first 2 shown]
	ds_read_u16 v57, v10 offset:3600
	ds_read_u16 v58, v10 offset:3360
	;; [unrolled: 1-line block ×15, first 2 shown]
	ds_read_u16 v72, v0
	v_lshlrev_b64 v[0:1], 2, v[1:2]
	v_add_nc_u32_e32 v2, 0x78, v3
	v_mul_lo_u32 v7, s3, v5
	v_mad_u64_u32 v[4:5], null, s2, v5, 0
	v_mul_hi_u32 v9, 0x88888889, v3
	v_add_nc_u32_e32 v30, 0x2d0, v3
	v_mul_hi_u32 v32, 0x88888889, v2
	v_add_nc_u32_e32 v10, 0xf0, v3
	v_add_nc_u32_e32 v27, 0x168, v3
	;; [unrolled: 1-line block ×3, first 2 shown]
	v_add3_u32 v5, v5, v6, v7
	v_mul_hi_u32 v7, 0x88888889, v30
	v_lshrrev_b32_e32 v9, 9, v9
	v_mul_hi_u32 v33, 0x88888889, v10
	v_lshrrev_b32_e32 v32, 9, v32
	v_lshlrev_b64 v[4:5], 2, v[4:5]
	v_add_nc_u32_e32 v29, 0x258, v3
	v_mul_u32_u24_e32 v9, 0x3c0, v9
	v_add_nc_u32_e32 v31, 0x348, v3
	v_lshrrev_b32_e32 v43, 9, v7
	v_mul_u32_u24_e32 v7, 0x3c0, v32
	v_lshrrev_b32_e32 v33, 9, v33
	v_sub_nc_u32_e32 v3, v3, v9
	v_add_co_u32 v4, vcc_lo, s10, v4
	v_sub_nc_u32_e32 v2, v2, v7
	v_mul_hi_u32 v34, 0x88888889, v27
	v_mul_hi_u32 v35, 0x88888889, v28
	v_add_co_ci_u32_e32 v5, vcc_lo, s11, v5, vcc_lo
	v_mul_u32_u24_e32 v9, 0x3c0, v33
	v_lshlrev_b32_e32 v3, 2, v3
	v_add_co_u32 v73, vcc_lo, v4, v0
	v_mad_u32_u24 v7, 0x780, v32, v2
	v_mul_hi_u32 v6, 0x88888889, v29
	v_mul_hi_u32 v36, 0x88888889, v31
	v_add_co_ci_u32_e32 v74, vcc_lo, v5, v1, vcc_lo
	v_lshrrev_b32_e32 v34, 9, v34
	v_lshrrev_b32_e32 v35, 9, v35
	v_sub_nc_u32_e32 v41, v10, v9
	v_add_co_u32 v0, vcc_lo, v73, v3
	v_lshlrev_b64 v[2:3], 2, v[7:8]
	v_add_nc_u32_e32 v7, 0x3c0, v7
	v_lshrrev_b32_e32 v6, 9, v6
	v_lshrrev_b32_e32 v47, 9, v36
	v_mul_u32_u24_e32 v36, 0x3c0, v34
	v_mul_u32_u24_e32 v37, 0x3c0, v35
	v_lshlrev_b64 v[9:10], 2, v[7:8]
	v_mad_u32_u24 v7, 0x780, v33, v41
	v_mul_u32_u24_e32 v38, 0x3c0, v6
	v_mul_u32_u24_e32 v39, 0x3c0, v43
	v_sub_nc_u32_e32 v36, v27, v36
	v_sub_nc_u32_e32 v37, v28, v37
	v_lshlrev_b64 v[27:28], 2, v[7:8]
	v_add_nc_u32_e32 v7, 0x3c0, v7
	v_mul_u32_u24_e32 v40, 0x3c0, v47
	v_sub_nc_u32_e32 v42, v29, v38
	v_sub_nc_u32_e32 v44, v30, v39
	v_add_co_ci_u32_e32 v1, vcc_lo, 0, v74, vcc_lo
	v_lshlrev_b64 v[29:30], 2, v[7:8]
	v_mad_u32_u24 v7, 0x780, v34, v36
	v_sub_nc_u32_e32 v48, v31, v40
	v_add_co_u32 v4, vcc_lo, 0x800, v0
	v_add_co_ci_u32_e32 v5, vcc_lo, 0, v1, vcc_lo
	v_lshlrev_b64 v[31:32], 2, v[7:8]
	v_add_nc_u32_e32 v7, 0x3c0, v7
	v_add_co_u32 v2, vcc_lo, v73, v2
	v_add_co_ci_u32_e32 v3, vcc_lo, v74, v3, vcc_lo
	v_lshlrev_b64 v[33:34], 2, v[7:8]
	v_mad_u32_u24 v7, 0x780, v35, v37
	v_add_co_u32 v9, vcc_lo, v73, v9
	v_add_co_ci_u32_e32 v10, vcc_lo, v74, v10, vcc_lo
	v_lshlrev_b64 v[35:36], 2, v[7:8]
	v_add_nc_u32_e32 v7, 0x3c0, v7
	v_add_co_u32 v27, vcc_lo, v73, v27
	v_add_co_ci_u32_e32 v28, vcc_lo, v74, v28, vcc_lo
	v_lshlrev_b64 v[37:38], 2, v[7:8]
	v_mad_u32_u24 v7, 0x780, v6, v42
	;; [unrolled: 8-line block ×3, first 2 shown]
	v_add_co_u32 v33, vcc_lo, v73, v33
	v_add_co_ci_u32_e32 v34, vcc_lo, v74, v34, vcc_lo
	v_add_co_u32 v35, vcc_lo, v73, v35
	v_lshlrev_b64 v[43:44], 2, v[7:8]
	v_add_nc_u32_e32 v7, 0x3c0, v7
	v_add_co_ci_u32_e32 v36, vcc_lo, v74, v36, vcc_lo
	v_add_co_u32 v37, vcc_lo, v73, v37
	v_add_co_ci_u32_e32 v38, vcc_lo, v74, v38, vcc_lo
	v_lshlrev_b64 v[45:46], 2, v[7:8]
	v_mad_u32_u24 v7, 0x780, v47, v48
	v_add_co_u32 v39, vcc_lo, v73, v39
	v_add_co_ci_u32_e32 v40, vcc_lo, v74, v40, vcc_lo
	v_add_co_u32 v41, vcc_lo, v73, v41
	v_lshlrev_b64 v[47:48], 2, v[7:8]
	v_add_nc_u32_e32 v7, 0x3c0, v7
	v_add_co_ci_u32_e32 v42, vcc_lo, v74, v42, vcc_lo
	v_add_co_u32 v43, vcc_lo, v73, v43
	v_add_co_ci_u32_e32 v44, vcc_lo, v74, v44, vcc_lo
	v_add_co_u32 v45, vcc_lo, v73, v45
	v_lshlrev_b64 v[6:7], 2, v[7:8]
	v_add_co_ci_u32_e32 v46, vcc_lo, v74, v46, vcc_lo
	v_add_co_u32 v47, vcc_lo, v73, v47
	v_add_co_ci_u32_e32 v48, vcc_lo, v74, v48, vcc_lo
	v_add_co_u32 v6, vcc_lo, v73, v6
	v_add_co_ci_u32_e32 v7, vcc_lo, v74, v7, vcc_lo
	s_waitcnt vmcnt(7)
	v_mul_f16_sdwa v73, v26, v49 dst_sel:DWORD dst_unused:UNUSED_PAD src0_sel:DWORD src1_sel:WORD_1
	s_waitcnt lgkmcnt(15)
	v_mul_f16_sdwa v8, v57, v49 dst_sel:DWORD dst_unused:UNUSED_PAD src0_sel:DWORD src1_sel:WORD_1
	v_fmac_f16_e32 v73, v49, v57
	v_fma_f16 v8, v26, v49, -v8
	s_waitcnt vmcnt(6) lgkmcnt(14)
	v_mul_f16_sdwa v74, v58, v50 dst_sel:DWORD dst_unused:UNUSED_PAD src0_sel:DWORD src1_sel:WORD_1
	v_mul_f16_sdwa v75, v25, v50 dst_sel:DWORD dst_unused:UNUSED_PAD src0_sel:DWORD src1_sel:WORD_1
	s_waitcnt vmcnt(5) lgkmcnt(13)
	v_mul_f16_sdwa v76, v59, v51 dst_sel:DWORD dst_unused:UNUSED_PAD src0_sel:DWORD src1_sel:WORD_1
	s_waitcnt vmcnt(3) lgkmcnt(2)
	v_mul_f16_sdwa v86, v70, v53 dst_sel:DWORD dst_unused:UNUSED_PAD src0_sel:DWORD src1_sel:WORD_1
	v_mul_f16_sdwa v87, v19, v53 dst_sel:DWORD dst_unused:UNUSED_PAD src0_sel:DWORD src1_sel:WORD_1
	s_waitcnt vmcnt(1)
	v_mul_f16_sdwa v82, v62, v55 dst_sel:DWORD dst_unused:UNUSED_PAD src0_sel:DWORD src1_sel:WORD_1
	s_waitcnt vmcnt(0)
	v_mul_f16_sdwa v84, v69, v56 dst_sel:DWORD dst_unused:UNUSED_PAD src0_sel:DWORD src1_sel:WORD_1
	v_mul_f16_sdwa v85, v20, v56 dst_sel:DWORD dst_unused:UNUSED_PAD src0_sel:DWORD src1_sel:WORD_1
	;; [unrolled: 1-line block ×8, first 2 shown]
	v_fma_f16 v19, v19, v53, -v86
	v_fmac_f16_e32 v87, v53, v70
	v_fma_f16 v20, v20, v56, -v84
	v_fmac_f16_e32 v85, v56, v69
	;; [unrolled: 2-line block ×7, first 2 shown]
	v_sub_f16_e32 v26, v63, v73
	v_sub_f16_e32 v19, v11, v19
	s_waitcnt lgkmcnt(0)
	v_sub_f16_e32 v55, v72, v87
	v_sub_f16_e32 v20, v14, v20
	;; [unrolled: 1-line block ×14, first 2 shown]
	v_fma_f16 v56, v63, 2.0, -v26
	v_fma_f16 v11, v11, 2.0, -v19
	;; [unrolled: 1-line block ×5, first 2 shown]
	v_pack_b32_f16 v19, v19, v55
	v_fma_f16 v12, v12, 2.0, -v22
	v_fma_f16 v61, v68, 2.0, -v53
	;; [unrolled: 1-line block ×11, first 2 shown]
	v_pack_b32_f16 v11, v11, v63
	global_store_dword v[4:5], v19, off offset:1792
	v_pack_b32_f16 v4, v14, v62
	v_pack_b32_f16 v20, v20, v54
	;; [unrolled: 1-line block ×14, first 2 shown]
	global_store_dword v[0:1], v11, off
	global_store_dword v[2:3], v4, off
	;; [unrolled: 1-line block ×15, first 2 shown]
.LBB0_29:
	s_endpgm
	.section	.rodata,"a",@progbits
	.p2align	6, 0x0
	.amdhsa_kernel fft_rtc_fwd_len1920_factors_10_6_16_2_wgs_240_tpt_120_halfLds_half_op_CI_CI_unitstride_sbrr_dirReg
		.amdhsa_group_segment_fixed_size 0
		.amdhsa_private_segment_fixed_size 0
		.amdhsa_kernarg_size 104
		.amdhsa_user_sgpr_count 6
		.amdhsa_user_sgpr_private_segment_buffer 1
		.amdhsa_user_sgpr_dispatch_ptr 0
		.amdhsa_user_sgpr_queue_ptr 0
		.amdhsa_user_sgpr_kernarg_segment_ptr 1
		.amdhsa_user_sgpr_dispatch_id 0
		.amdhsa_user_sgpr_flat_scratch_init 0
		.amdhsa_user_sgpr_private_segment_size 0
		.amdhsa_wavefront_size32 1
		.amdhsa_uses_dynamic_stack 0
		.amdhsa_system_sgpr_private_segment_wavefront_offset 0
		.amdhsa_system_sgpr_workgroup_id_x 1
		.amdhsa_system_sgpr_workgroup_id_y 0
		.amdhsa_system_sgpr_workgroup_id_z 0
		.amdhsa_system_sgpr_workgroup_info 0
		.amdhsa_system_vgpr_workitem_id 0
		.amdhsa_next_free_vgpr 88
		.amdhsa_next_free_sgpr 27
		.amdhsa_reserve_vcc 1
		.amdhsa_reserve_flat_scratch 0
		.amdhsa_float_round_mode_32 0
		.amdhsa_float_round_mode_16_64 0
		.amdhsa_float_denorm_mode_32 3
		.amdhsa_float_denorm_mode_16_64 3
		.amdhsa_dx10_clamp 1
		.amdhsa_ieee_mode 1
		.amdhsa_fp16_overflow 0
		.amdhsa_workgroup_processor_mode 1
		.amdhsa_memory_ordered 1
		.amdhsa_forward_progress 0
		.amdhsa_shared_vgpr_count 0
		.amdhsa_exception_fp_ieee_invalid_op 0
		.amdhsa_exception_fp_denorm_src 0
		.amdhsa_exception_fp_ieee_div_zero 0
		.amdhsa_exception_fp_ieee_overflow 0
		.amdhsa_exception_fp_ieee_underflow 0
		.amdhsa_exception_fp_ieee_inexact 0
		.amdhsa_exception_int_div_zero 0
	.end_amdhsa_kernel
	.text
.Lfunc_end0:
	.size	fft_rtc_fwd_len1920_factors_10_6_16_2_wgs_240_tpt_120_halfLds_half_op_CI_CI_unitstride_sbrr_dirReg, .Lfunc_end0-fft_rtc_fwd_len1920_factors_10_6_16_2_wgs_240_tpt_120_halfLds_half_op_CI_CI_unitstride_sbrr_dirReg
                                        ; -- End function
	.section	.AMDGPU.csdata,"",@progbits
; Kernel info:
; codeLenInByte = 10620
; NumSgprs: 29
; NumVgprs: 88
; ScratchSize: 0
; MemoryBound: 0
; FloatMode: 240
; IeeeMode: 1
; LDSByteSize: 0 bytes/workgroup (compile time only)
; SGPRBlocks: 3
; VGPRBlocks: 10
; NumSGPRsForWavesPerEU: 29
; NumVGPRsForWavesPerEU: 88
; Occupancy: 10
; WaveLimiterHint : 1
; COMPUTE_PGM_RSRC2:SCRATCH_EN: 0
; COMPUTE_PGM_RSRC2:USER_SGPR: 6
; COMPUTE_PGM_RSRC2:TRAP_HANDLER: 0
; COMPUTE_PGM_RSRC2:TGID_X_EN: 1
; COMPUTE_PGM_RSRC2:TGID_Y_EN: 0
; COMPUTE_PGM_RSRC2:TGID_Z_EN: 0
; COMPUTE_PGM_RSRC2:TIDIG_COMP_CNT: 0
	.text
	.p2alignl 6, 3214868480
	.fill 48, 4, 3214868480
	.type	__hip_cuid_54c62c6819897ba1,@object ; @__hip_cuid_54c62c6819897ba1
	.section	.bss,"aw",@nobits
	.globl	__hip_cuid_54c62c6819897ba1
__hip_cuid_54c62c6819897ba1:
	.byte	0                               ; 0x0
	.size	__hip_cuid_54c62c6819897ba1, 1

	.ident	"AMD clang version 19.0.0git (https://github.com/RadeonOpenCompute/llvm-project roc-6.4.0 25133 c7fe45cf4b819c5991fe208aaa96edf142730f1d)"
	.section	".note.GNU-stack","",@progbits
	.addrsig
	.addrsig_sym __hip_cuid_54c62c6819897ba1
	.amdgpu_metadata
---
amdhsa.kernels:
  - .args:
      - .actual_access:  read_only
        .address_space:  global
        .offset:         0
        .size:           8
        .value_kind:     global_buffer
      - .offset:         8
        .size:           8
        .value_kind:     by_value
      - .actual_access:  read_only
        .address_space:  global
        .offset:         16
        .size:           8
        .value_kind:     global_buffer
      - .actual_access:  read_only
        .address_space:  global
        .offset:         24
        .size:           8
        .value_kind:     global_buffer
      - .actual_access:  read_only
        .address_space:  global
        .offset:         32
        .size:           8
        .value_kind:     global_buffer
      - .offset:         40
        .size:           8
        .value_kind:     by_value
      - .actual_access:  read_only
        .address_space:  global
        .offset:         48
        .size:           8
        .value_kind:     global_buffer
      - .actual_access:  read_only
        .address_space:  global
        .offset:         56
        .size:           8
        .value_kind:     global_buffer
      - .offset:         64
        .size:           4
        .value_kind:     by_value
      - .actual_access:  read_only
        .address_space:  global
        .offset:         72
        .size:           8
        .value_kind:     global_buffer
      - .actual_access:  read_only
        .address_space:  global
        .offset:         80
        .size:           8
        .value_kind:     global_buffer
      - .actual_access:  read_only
        .address_space:  global
        .offset:         88
        .size:           8
        .value_kind:     global_buffer
      - .actual_access:  write_only
        .address_space:  global
        .offset:         96
        .size:           8
        .value_kind:     global_buffer
    .group_segment_fixed_size: 0
    .kernarg_segment_align: 8
    .kernarg_segment_size: 104
    .language:       OpenCL C
    .language_version:
      - 2
      - 0
    .max_flat_workgroup_size: 240
    .name:           fft_rtc_fwd_len1920_factors_10_6_16_2_wgs_240_tpt_120_halfLds_half_op_CI_CI_unitstride_sbrr_dirReg
    .private_segment_fixed_size: 0
    .sgpr_count:     29
    .sgpr_spill_count: 0
    .symbol:         fft_rtc_fwd_len1920_factors_10_6_16_2_wgs_240_tpt_120_halfLds_half_op_CI_CI_unitstride_sbrr_dirReg.kd
    .uniform_work_group_size: 1
    .uses_dynamic_stack: false
    .vgpr_count:     88
    .vgpr_spill_count: 0
    .wavefront_size: 32
    .workgroup_processor_mode: 1
amdhsa.target:   amdgcn-amd-amdhsa--gfx1030
amdhsa.version:
  - 1
  - 2
...

	.end_amdgpu_metadata
